;; amdgpu-corpus repo=ROCm/rocFFT kind=compiled arch=gfx906 opt=O3
	.text
	.amdgcn_target "amdgcn-amd-amdhsa--gfx906"
	.amdhsa_code_object_version 6
	.protected	fft_rtc_fwd_len650_factors_10_5_13_wgs_195_tpt_65_half_ip_CI_sbrr_dirReg ; -- Begin function fft_rtc_fwd_len650_factors_10_5_13_wgs_195_tpt_65_half_ip_CI_sbrr_dirReg
	.globl	fft_rtc_fwd_len650_factors_10_5_13_wgs_195_tpt_65_half_ip_CI_sbrr_dirReg
	.p2align	8
	.type	fft_rtc_fwd_len650_factors_10_5_13_wgs_195_tpt_65_half_ip_CI_sbrr_dirReg,@function
fft_rtc_fwd_len650_factors_10_5_13_wgs_195_tpt_65_half_ip_CI_sbrr_dirReg: ; @fft_rtc_fwd_len650_factors_10_5_13_wgs_195_tpt_65_half_ip_CI_sbrr_dirReg
; %bb.0:
	s_load_dwordx2 s[14:15], s[4:5], 0x18
	s_load_dwordx4 s[8:11], s[4:5], 0x0
	s_load_dwordx2 s[12:13], s[4:5], 0x50
	v_mul_u32_u24_e32 v1, 0x3f1, v0
	v_lshrrev_b32_e32 v1, 16, v1
	s_waitcnt lgkmcnt(0)
	s_load_dwordx2 s[2:3], s[14:15], 0x0
	v_mad_u64_u32 v[2:3], s[0:1], s6, 3, v[1:2]
	v_mov_b32_e32 v6, 0
	v_cmp_lt_u64_e64 s[0:1], s[10:11], 2
	v_mov_b32_e32 v3, v6
	v_mov_b32_e32 v4, 0
	;; [unrolled: 1-line block ×3, first 2 shown]
	s_and_b64 vcc, exec, s[0:1]
	v_mov_b32_e32 v5, 0
	v_mov_b32_e32 v10, v2
	s_cbranch_vccnz .LBB0_8
; %bb.1:
	s_load_dwordx2 s[0:1], s[4:5], 0x10
	s_add_u32 s6, s14, 8
	s_addc_u32 s7, s15, 0
	v_mov_b32_e32 v4, 0
	v_mov_b32_e32 v9, v3
	s_waitcnt lgkmcnt(0)
	s_add_u32 s18, s0, 8
	s_mov_b64 s[16:17], 1
	v_mov_b32_e32 v5, 0
	s_addc_u32 s19, s1, 0
	v_mov_b32_e32 v8, v2
.LBB0_2:                                ; =>This Inner Loop Header: Depth=1
	s_load_dwordx2 s[20:21], s[18:19], 0x0
                                        ; implicit-def: $vgpr10_vgpr11
	s_waitcnt lgkmcnt(0)
	v_or_b32_e32 v7, s21, v9
	v_cmp_ne_u64_e32 vcc, 0, v[6:7]
	s_and_saveexec_b64 s[0:1], vcc
	s_xor_b64 s[22:23], exec, s[0:1]
	s_cbranch_execz .LBB0_4
; %bb.3:                                ;   in Loop: Header=BB0_2 Depth=1
	v_cvt_f32_u32_e32 v1, s20
	v_cvt_f32_u32_e32 v3, s21
	s_sub_u32 s0, 0, s20
	s_subb_u32 s1, 0, s21
	v_mac_f32_e32 v1, 0x4f800000, v3
	v_rcp_f32_e32 v1, v1
	v_mul_f32_e32 v1, 0x5f7ffffc, v1
	v_mul_f32_e32 v3, 0x2f800000, v1
	v_trunc_f32_e32 v3, v3
	v_mac_f32_e32 v1, 0xcf800000, v3
	v_cvt_u32_f32_e32 v3, v3
	v_cvt_u32_f32_e32 v1, v1
	v_mul_lo_u32 v7, s0, v3
	v_mul_hi_u32 v10, s0, v1
	v_mul_lo_u32 v12, s1, v1
	v_mul_lo_u32 v11, s0, v1
	v_add_u32_e32 v7, v10, v7
	v_add_u32_e32 v7, v7, v12
	v_mul_hi_u32 v10, v1, v11
	v_mul_lo_u32 v12, v1, v7
	v_mul_hi_u32 v14, v1, v7
	v_mul_hi_u32 v13, v3, v11
	v_mul_lo_u32 v11, v3, v11
	v_mul_hi_u32 v15, v3, v7
	v_add_co_u32_e32 v10, vcc, v10, v12
	v_addc_co_u32_e32 v12, vcc, 0, v14, vcc
	v_mul_lo_u32 v7, v3, v7
	v_add_co_u32_e32 v10, vcc, v10, v11
	v_addc_co_u32_e32 v10, vcc, v12, v13, vcc
	v_addc_co_u32_e32 v11, vcc, 0, v15, vcc
	v_add_co_u32_e32 v7, vcc, v10, v7
	v_addc_co_u32_e32 v10, vcc, 0, v11, vcc
	v_add_co_u32_e32 v1, vcc, v1, v7
	v_addc_co_u32_e32 v3, vcc, v3, v10, vcc
	v_mul_lo_u32 v7, s0, v3
	v_mul_hi_u32 v10, s0, v1
	v_mul_lo_u32 v11, s1, v1
	v_mul_lo_u32 v12, s0, v1
	v_add_u32_e32 v7, v10, v7
	v_add_u32_e32 v7, v7, v11
	v_mul_lo_u32 v13, v1, v7
	v_mul_hi_u32 v14, v1, v12
	v_mul_hi_u32 v15, v1, v7
	;; [unrolled: 1-line block ×3, first 2 shown]
	v_mul_lo_u32 v12, v3, v12
	v_mul_hi_u32 v10, v3, v7
	v_add_co_u32_e32 v13, vcc, v14, v13
	v_addc_co_u32_e32 v14, vcc, 0, v15, vcc
	v_mul_lo_u32 v7, v3, v7
	v_add_co_u32_e32 v12, vcc, v13, v12
	v_addc_co_u32_e32 v11, vcc, v14, v11, vcc
	v_addc_co_u32_e32 v10, vcc, 0, v10, vcc
	v_add_co_u32_e32 v7, vcc, v11, v7
	v_addc_co_u32_e32 v10, vcc, 0, v10, vcc
	v_add_co_u32_e32 v1, vcc, v1, v7
	v_addc_co_u32_e32 v3, vcc, v3, v10, vcc
	v_mad_u64_u32 v[10:11], s[0:1], v8, v3, 0
	v_mul_hi_u32 v7, v8, v1
	v_mad_u64_u32 v[12:13], s[0:1], v9, v3, 0
	v_add_co_u32_e32 v7, vcc, v7, v10
	v_addc_co_u32_e32 v14, vcc, 0, v11, vcc
	v_mad_u64_u32 v[10:11], s[0:1], v9, v1, 0
	v_add_co_u32_e32 v1, vcc, v7, v10
	v_addc_co_u32_e32 v1, vcc, v14, v11, vcc
	v_addc_co_u32_e32 v3, vcc, 0, v13, vcc
	v_add_co_u32_e32 v1, vcc, v1, v12
	v_addc_co_u32_e32 v3, vcc, 0, v3, vcc
	v_mul_lo_u32 v7, s21, v1
	v_mul_lo_u32 v12, s20, v3
	v_mad_u64_u32 v[10:11], s[0:1], s20, v1, 0
	v_add3_u32 v7, v11, v12, v7
	v_sub_u32_e32 v11, v9, v7
	v_mov_b32_e32 v12, s21
	v_sub_co_u32_e32 v10, vcc, v8, v10
	v_subb_co_u32_e64 v11, s[0:1], v11, v12, vcc
	v_subrev_co_u32_e64 v12, s[0:1], s20, v10
	v_subbrev_co_u32_e64 v11, s[0:1], 0, v11, s[0:1]
	v_cmp_le_u32_e64 s[0:1], s21, v11
	v_cndmask_b32_e64 v13, 0, -1, s[0:1]
	v_cmp_le_u32_e64 s[0:1], s20, v12
	v_cndmask_b32_e64 v12, 0, -1, s[0:1]
	v_cmp_eq_u32_e64 s[0:1], s21, v11
	v_cndmask_b32_e64 v11, v13, v12, s[0:1]
	v_add_co_u32_e64 v12, s[0:1], 2, v1
	v_addc_co_u32_e64 v13, s[0:1], 0, v3, s[0:1]
	v_add_co_u32_e64 v14, s[0:1], 1, v1
	v_addc_co_u32_e64 v15, s[0:1], 0, v3, s[0:1]
	v_subb_co_u32_e32 v7, vcc, v9, v7, vcc
	v_cmp_ne_u32_e64 s[0:1], 0, v11
	v_cmp_le_u32_e32 vcc, s21, v7
	v_cndmask_b32_e64 v11, v15, v13, s[0:1]
	v_cndmask_b32_e64 v13, 0, -1, vcc
	v_cmp_le_u32_e32 vcc, s20, v10
	v_cndmask_b32_e64 v10, 0, -1, vcc
	v_cmp_eq_u32_e32 vcc, s21, v7
	v_cndmask_b32_e32 v7, v13, v10, vcc
	v_cmp_ne_u32_e32 vcc, 0, v7
	v_cndmask_b32_e32 v11, v3, v11, vcc
	v_cndmask_b32_e64 v3, v14, v12, s[0:1]
	v_cndmask_b32_e32 v10, v1, v3, vcc
.LBB0_4:                                ;   in Loop: Header=BB0_2 Depth=1
	s_andn2_saveexec_b64 s[0:1], s[22:23]
	s_cbranch_execz .LBB0_6
; %bb.5:                                ;   in Loop: Header=BB0_2 Depth=1
	v_cvt_f32_u32_e32 v1, s20
	s_sub_i32 s22, 0, s20
	v_mov_b32_e32 v11, v6
	v_rcp_iflag_f32_e32 v1, v1
	v_mul_f32_e32 v1, 0x4f7ffffe, v1
	v_cvt_u32_f32_e32 v1, v1
	v_mul_lo_u32 v3, s22, v1
	v_mul_hi_u32 v3, v1, v3
	v_add_u32_e32 v1, v1, v3
	v_mul_hi_u32 v1, v8, v1
	v_mul_lo_u32 v3, v1, s20
	v_add_u32_e32 v7, 1, v1
	v_sub_u32_e32 v3, v8, v3
	v_subrev_u32_e32 v10, s20, v3
	v_cmp_le_u32_e32 vcc, s20, v3
	v_cndmask_b32_e32 v3, v3, v10, vcc
	v_cndmask_b32_e32 v1, v1, v7, vcc
	v_add_u32_e32 v7, 1, v1
	v_cmp_le_u32_e32 vcc, s20, v3
	v_cndmask_b32_e32 v10, v1, v7, vcc
.LBB0_6:                                ;   in Loop: Header=BB0_2 Depth=1
	s_or_b64 exec, exec, s[0:1]
	v_mul_lo_u32 v1, v11, s20
	v_mul_lo_u32 v3, v10, s21
	v_mad_u64_u32 v[12:13], s[0:1], v10, s20, 0
	s_load_dwordx2 s[0:1], s[6:7], 0x0
	s_add_u32 s16, s16, 1
	v_add3_u32 v1, v13, v3, v1
	v_sub_co_u32_e32 v3, vcc, v8, v12
	v_subb_co_u32_e32 v1, vcc, v9, v1, vcc
	s_waitcnt lgkmcnt(0)
	v_mul_lo_u32 v1, s0, v1
	v_mul_lo_u32 v7, s1, v3
	v_mad_u64_u32 v[4:5], s[0:1], s0, v3, v[4:5]
	s_addc_u32 s17, s17, 0
	s_add_u32 s6, s6, 8
	v_add3_u32 v5, v7, v5, v1
	v_mov_b32_e32 v7, s10
	v_mov_b32_e32 v8, s11
	s_addc_u32 s7, s7, 0
	v_cmp_ge_u64_e32 vcc, s[16:17], v[7:8]
	s_add_u32 s18, s18, 8
	s_addc_u32 s19, s19, 0
	s_cbranch_vccnz .LBB0_8
; %bb.7:                                ;   in Loop: Header=BB0_2 Depth=1
	v_mov_b32_e32 v8, v10
	v_mov_b32_e32 v9, v11
	s_branch .LBB0_2
.LBB0_8:
	s_lshl_b64 s[0:1], s[10:11], 3
	s_add_u32 s0, s14, s0
	s_addc_u32 s1, s15, s1
	s_load_dwordx2 s[6:7], s[0:1], 0x0
	s_load_dwordx2 s[10:11], s[4:5], 0x20
	s_waitcnt lgkmcnt(0)
	v_mad_u64_u32 v[3:4], s[0:1], s6, v10, v[4:5]
	s_mov_b32 s0, 0x3f03f04
	v_mul_lo_u32 v1, s6, v11
	v_mul_lo_u32 v6, s7, v10
	v_mul_hi_u32 v5, v0, s0
	v_cmp_gt_u64_e32 vcc, s[10:11], v[10:11]
	v_cmp_le_u64_e64 s[0:1], s[10:11], v[10:11]
	v_add3_u32 v4, v6, v4, v1
	v_mul_u32_u24_e32 v1, 0x41, v5
	v_sub_u32_e32 v14, v0, v1
                                        ; implicit-def: $vgpr5
	s_and_saveexec_b64 s[4:5], s[0:1]
	s_xor_b64 s[0:1], exec, s[4:5]
; %bb.9:
	v_add_u32_e32 v5, 0x41, v14
; %bb.10:
	s_or_saveexec_b64 s[4:5], s[0:1]
	v_lshlrev_b64 v[0:1], 2, v[3:4]
                                        ; implicit-def: $vgpr13
                                        ; implicit-def: $vgpr12
                                        ; implicit-def: $vgpr3
                                        ; implicit-def: $vgpr4
                                        ; implicit-def: $vgpr7
                                        ; implicit-def: $vgpr6
                                        ; implicit-def: $vgpr10
                                        ; implicit-def: $vgpr11
                                        ; implicit-def: $vgpr8
                                        ; implicit-def: $vgpr9
	s_xor_b64 exec, exec, s[4:5]
	s_cbranch_execz .LBB0_12
; %bb.11:
	v_mad_u64_u32 v[3:4], s[0:1], s2, v14, 0
	v_mov_b32_e32 v8, s13
	v_add_u32_e32 v10, 0x82, v14
	v_mad_u64_u32 v[4:5], s[0:1], s3, v14, v[4:5]
	v_add_u32_e32 v5, 0x41, v14
	v_mad_u64_u32 v[6:7], s[0:1], s2, v5, 0
	v_add_co_u32_e64 v12, s[0:1], s12, v0
	v_addc_co_u32_e64 v13, s[0:1], v8, v1, s[0:1]
	v_mad_u64_u32 v[7:8], s[0:1], s3, v5, v[7:8]
	v_mad_u64_u32 v[8:9], s[0:1], s2, v10, 0
	v_lshlrev_b64 v[3:4], 2, v[3:4]
	v_add_co_u32_e64 v15, s[0:1], v12, v3
	v_addc_co_u32_e64 v16, s[0:1], v13, v4, s[0:1]
	v_lshlrev_b64 v[3:4], 2, v[6:7]
	v_mov_b32_e32 v6, v9
	v_mad_u64_u32 v[6:7], s[0:1], s3, v10, v[6:7]
	v_add_u32_e32 v7, 0xc3, v14
	v_mad_u64_u32 v[10:11], s[0:1], s2, v7, 0
	v_add_co_u32_e64 v17, s[0:1], v12, v3
	v_mov_b32_e32 v9, v6
	v_mov_b32_e32 v6, v11
	v_addc_co_u32_e64 v18, s[0:1], v13, v4, s[0:1]
	v_lshlrev_b64 v[3:4], 2, v[8:9]
	v_mad_u64_u32 v[6:7], s[0:1], s3, v7, v[6:7]
	v_add_u32_e32 v9, 0x104, v14
	v_mad_u64_u32 v[7:8], s[0:1], s2, v9, 0
	v_add_co_u32_e64 v19, s[0:1], v12, v3
	v_mov_b32_e32 v11, v6
	v_mov_b32_e32 v6, v8
	v_addc_co_u32_e64 v20, s[0:1], v13, v4, s[0:1]
	v_lshlrev_b64 v[3:4], 2, v[10:11]
	v_mad_u64_u32 v[8:9], s[0:1], s3, v9, v[6:7]
	v_add_u32_e32 v11, 0x145, v14
	v_mad_u64_u32 v[9:10], s[0:1], s2, v11, 0
	v_add_co_u32_e64 v21, s[0:1], v12, v3
	v_mov_b32_e32 v6, v10
	v_addc_co_u32_e64 v22, s[0:1], v13, v4, s[0:1]
	v_lshlrev_b64 v[3:4], 2, v[7:8]
	v_mad_u64_u32 v[6:7], s[0:1], s3, v11, v[6:7]
	v_add_u32_e32 v11, 0x186, v14
	v_mad_u64_u32 v[7:8], s[0:1], s2, v11, 0
	v_add_co_u32_e64 v23, s[0:1], v12, v3
	v_mov_b32_e32 v10, v6
	v_mov_b32_e32 v6, v8
	v_addc_co_u32_e64 v24, s[0:1], v13, v4, s[0:1]
	v_lshlrev_b64 v[3:4], 2, v[9:10]
	v_mad_u64_u32 v[8:9], s[0:1], s3, v11, v[6:7]
	v_add_u32_e32 v11, 0x1c7, v14
	v_mad_u64_u32 v[9:10], s[0:1], s2, v11, 0
	v_add_co_u32_e64 v25, s[0:1], v12, v3
	;; [unrolled: 15-line block ×3, first 2 shown]
	v_mov_b32_e32 v6, v10
	v_addc_co_u32_e64 v30, s[0:1], v13, v4, s[0:1]
	v_lshlrev_b64 v[3:4], 2, v[7:8]
	v_mad_u64_u32 v[6:7], s[0:1], s3, v11, v[6:7]
	v_add_co_u32_e64 v31, s[0:1], v12, v3
	v_mov_b32_e32 v10, v6
	v_addc_co_u32_e64 v32, s[0:1], v13, v4, s[0:1]
	v_lshlrev_b64 v[3:4], 2, v[9:10]
	v_add_co_u32_e64 v33, s[0:1], v12, v3
	v_addc_co_u32_e64 v34, s[0:1], v13, v4, s[0:1]
	global_load_dword v13, v[15:16], off
	global_load_dword v10, v[17:18], off
	;; [unrolled: 1-line block ×10, first 2 shown]
.LBB0_12:
	s_or_b64 exec, exec, s[4:5]
	s_mov_b32 s0, 0xaaaaaaab
	v_mul_hi_u32 v15, v2, s0
	s_waitcnt vmcnt(3)
	v_add_f16_e32 v17, v3, v4
	v_fma_f16 v17, v17, -0.5, v13
	s_movk_i32 s0, 0x3b9c
	v_lshrrev_b32_e32 v15, 1, v15
	v_lshl_add_u32 v15, v15, 1, v15
	v_sub_u32_e32 v2, v2, v15
	s_waitcnt vmcnt(1)
	v_sub_f16_sdwa v15, v12, v7 dst_sel:DWORD dst_unused:UNUSED_PAD src0_sel:WORD_1 src1_sel:WORD_1
	s_mov_b32 s5, 0xbb9c
	v_fma_f16 v18, v15, s0, v17
	v_sub_f16_sdwa v19, v3, v4 dst_sel:DWORD dst_unused:UNUSED_PAD src0_sel:WORD_1 src1_sel:WORD_1
	s_movk_i32 s1, 0x38b4
	v_sub_f16_e32 v20, v7, v4
	v_sub_f16_e32 v21, v12, v3
	v_fma_f16 v17, v15, s5, v17
	s_mov_b32 s6, 0xb8b4
	v_fma_f16 v18, v19, s1, v18
	v_add_f16_e32 v20, v21, v20
	s_movk_i32 s4, 0x34f2
	v_fma_f16 v17, v19, s6, v17
	v_fma_f16 v18, v20, s4, v18
	;; [unrolled: 1-line block ×3, first 2 shown]
	v_add_f16_e32 v20, v12, v7
	v_fma_f16 v20, v20, -0.5, v13
	v_fma_f16 v21, v19, s5, v20
	v_fma_f16 v19, v19, s0, v20
	v_pk_add_f16 v16, v13, v12
	v_fma_f16 v21, v15, s1, v21
	v_sub_f16_e32 v22, v4, v7
	v_sub_f16_e32 v23, v3, v12
	v_fma_f16 v15, v15, s6, v19
	v_add_f16_sdwa v19, v3, v4 dst_sel:DWORD dst_unused:UNUSED_PAD src0_sel:WORD_1 src1_sel:WORD_1
	v_lshrrev_b32_e32 v13, 16, v13
	v_add_f16_e32 v22, v23, v22
	v_fma_f16 v19, v19, -0.5, v13
	v_sub_f16_e32 v20, v12, v7
	v_fma_f16 v21, v22, s4, v21
	v_fma_f16 v15, v22, s4, v15
	;; [unrolled: 1-line block ×3, first 2 shown]
	v_sub_f16_e32 v23, v3, v4
	v_sub_f16_sdwa v24, v12, v3 dst_sel:DWORD dst_unused:UNUSED_PAD src0_sel:WORD_1 src1_sel:WORD_1
	v_sub_f16_sdwa v25, v7, v4 dst_sel:DWORD dst_unused:UNUSED_PAD src0_sel:WORD_1 src1_sel:WORD_1
	v_fma_f16 v19, v20, s0, v19
	v_fma_f16 v22, v23, s6, v22
	v_add_f16_e32 v24, v24, v25
	v_fma_f16 v19, v23, s1, v19
	v_fma_f16 v22, v24, s4, v22
	;; [unrolled: 1-line block ×3, first 2 shown]
	v_add_f16_sdwa v24, v12, v7 dst_sel:DWORD dst_unused:UNUSED_PAD src0_sel:WORD_1 src1_sel:WORD_1
	v_fma_f16 v13, v24, -0.5, v13
	v_fma_f16 v24, v23, s0, v13
	v_sub_f16_sdwa v12, v3, v12 dst_sel:DWORD dst_unused:UNUSED_PAD src0_sel:WORD_1 src1_sel:WORD_1
	v_sub_f16_sdwa v25, v4, v7 dst_sel:DWORD dst_unused:UNUSED_PAD src0_sel:WORD_1 src1_sel:WORD_1
	v_fma_f16 v13, v23, s5, v13
	v_fma_f16 v24, v20, s6, v24
	v_add_f16_e32 v12, v12, v25
	v_fma_f16 v13, v20, s1, v13
	v_fma_f16 v24, v12, s4, v24
	;; [unrolled: 1-line block ×3, first 2 shown]
	v_add_f16_e32 v13, v8, v9
	v_fma_f16 v13, v13, -0.5, v10
	s_waitcnt vmcnt(0)
	v_sub_f16_sdwa v20, v11, v6 dst_sel:DWORD dst_unused:UNUSED_PAD src0_sel:WORD_1 src1_sel:WORD_1
	v_fma_f16 v23, v20, s0, v13
	v_sub_f16_sdwa v25, v8, v9 dst_sel:DWORD dst_unused:UNUSED_PAD src0_sel:WORD_1 src1_sel:WORD_1
	v_sub_f16_e32 v26, v6, v9
	v_sub_f16_e32 v27, v11, v8
	v_fma_f16 v13, v20, s5, v13
	v_fma_f16 v23, v25, s1, v23
	v_add_f16_e32 v26, v27, v26
	v_fma_f16 v13, v25, s6, v13
	v_fma_f16 v23, v26, s4, v23
	;; [unrolled: 1-line block ×3, first 2 shown]
	v_add_f16_e32 v26, v11, v6
	v_fma_f16 v26, v26, -0.5, v10
	v_fma_f16 v27, v25, s5, v26
	v_sub_f16_e32 v28, v9, v6
	v_sub_f16_e32 v29, v8, v11
	v_fma_f16 v25, v25, s0, v26
	v_fma_f16 v27, v20, s1, v27
	v_add_f16_e32 v28, v29, v28
	v_fma_f16 v20, v20, s6, v25
	v_fma_f16 v27, v28, s4, v27
	;; [unrolled: 1-line block ×3, first 2 shown]
	v_add_f16_sdwa v25, v8, v9 dst_sel:DWORD dst_unused:UNUSED_PAD src0_sel:WORD_1 src1_sel:WORD_1
	v_lshrrev_b32_e32 v26, 16, v10
	v_sub_f16_sdwa v28, v11, v8 dst_sel:DWORD dst_unused:UNUSED_PAD src0_sel:WORD_1 src1_sel:WORD_1
	v_sub_f16_sdwa v29, v6, v9 dst_sel:DWORD dst_unused:UNUSED_PAD src0_sel:WORD_1 src1_sel:WORD_1
	v_fma_f16 v25, v25, -0.5, v26
	v_add_f16_e32 v28, v28, v29
	v_sub_f16_e32 v29, v11, v6
	v_fma_f16 v30, v29, s5, v25
	v_sub_f16_e32 v31, v8, v9
	v_fma_f16 v25, v29, s0, v25
	v_fma_f16 v30, v31, s6, v30
	;; [unrolled: 1-line block ×5, first 2 shown]
	v_add_f16_sdwa v28, v11, v6 dst_sel:DWORD dst_unused:UNUSED_PAD src0_sel:WORD_1 src1_sel:WORD_1
	v_fma_f16 v26, v28, -0.5, v26
	v_pk_add_f16 v10, v10, v11
	v_sub_f16_sdwa v11, v8, v11 dst_sel:DWORD dst_unused:UNUSED_PAD src0_sel:WORD_1 src1_sel:WORD_1
	v_sub_f16_sdwa v28, v9, v6 dst_sel:DWORD dst_unused:UNUSED_PAD src0_sel:WORD_1 src1_sel:WORD_1
	v_add_f16_e32 v11, v11, v28
	v_fma_f16 v28, v31, s0, v26
	v_fma_f16 v28, v29, s6, v28
	;; [unrolled: 1-line block ×5, first 2 shown]
	v_mul_f16_e32 v29, 0x3b9c, v28
	v_fma_f16 v29, v27, s4, v29
	v_mul_f16_e32 v27, 0xbb9c, v27
	v_fma_f16 v11, v11, s4, v26
	v_fma_f16 v27, v28, s4, v27
	v_mul_f16_e32 v28, 0x34f2, v20
	v_mul_u32_u24_e32 v2, 0x28a, v2
	s_movk_i32 s7, 0x3a79
	v_mul_f16_e32 v26, 0x3a79, v23
	v_mul_f16_e32 v23, 0xb8b4, v23
	v_fma_f16 v28, v11, s0, -v28
	v_mul_f16_e32 v11, 0x34f2, v11
	v_fma_f16 v26, v30, s1, v26
	v_fma_f16 v23, v30, s7, v23
	v_fma_f16 v11, v20, s5, -v11
	v_mul_f16_e32 v20, 0x3a79, v13
	v_lshlrev_b32_e32 v30, 2, v2
	v_pk_add_f16 v2, v16, v3
	v_fma_f16 v20, v25, s1, -v20
	v_mul_f16_e32 v25, 0x3a79, v25
	v_pk_add_f16 v2, v2, v4
	v_pk_add_f16 v4, v10, v8
	v_fma_f16 v13, v13, s6, -v25
	v_pk_add_f16 v4, v4, v9
	v_add_f16_e32 v25, v18, v26
	v_sub_f16_e32 v18, v18, v26
	v_add_f16_e32 v26, v21, v29
	v_sub_f16_e32 v21, v21, v29
	v_add_f16_e32 v29, v15, v28
	v_sub_f16_e32 v15, v15, v28
	v_add_f16_e32 v28, v17, v20
	v_sub_f16_e32 v17, v17, v20
	v_add_f16_e32 v20, v22, v23
	v_sub_f16_e32 v22, v22, v23
	v_add_f16_e32 v23, v24, v27
	v_sub_f16_e32 v24, v24, v27
	v_add_f16_e32 v27, v12, v11
	v_sub_f16_e32 v11, v12, v11
	v_add_f16_e32 v12, v19, v13
	v_sub_f16_e32 v13, v19, v13
	v_mul_u32_u24_e32 v19, 10, v14
	v_add_u32_e32 v31, 0, v30
	v_pk_add_f16 v2, v2, v7
	v_pk_add_f16 v4, v6, v4
	v_lshl_add_u32 v3, v19, 2, v31
	v_pk_add_f16 v6, v2, v4
	v_pk_add_f16 v2, v2, v4 neg_lo:[0,1] neg_hi:[0,1]
	v_pack_b32_f16 v4, v28, v12
	ds_write2_b32 v3, v4, v2 offset0:4 offset1:5
	v_pack_b32_f16 v2, v18, v22
	v_pack_b32_f16 v4, v21, v24
	ds_write2_b32 v3, v2, v4 offset0:6 offset1:7
	v_pack_b32_f16 v2, v17, v13
	v_pack_b32_f16 v4, v15, v11
	s_movk_i32 s7, 0xcd
	ds_write2_b32 v3, v4, v2 offset0:8 offset1:9
	v_mul_lo_u16_sdwa v2, v14, s7 dst_sel:DWORD dst_unused:UNUSED_PAD src0_sel:BYTE_0 src1_sel:DWORD
	v_lshrrev_b16_e32 v10, 11, v2
	v_mul_lo_u16_e32 v2, 10, v10
	v_pack_b32_f16 v7, v25, v20
	v_sub_u16_e32 v13, v14, v2
	v_mov_b32_e32 v2, 4
	ds_write2_b32 v3, v6, v7 offset1:1
	v_pack_b32_f16 v6, v29, v27
	v_pack_b32_f16 v7, v26, v23
	v_lshlrev_b32_sdwa v4, v2, v13 dst_sel:DWORD dst_unused:UNUSED_PAD src0_sel:DWORD src1_sel:BYTE_0
	ds_write2_b32 v3, v7, v6 offset0:2 offset1:3
	s_waitcnt lgkmcnt(0)
	s_barrier
	global_load_dwordx4 v[6:9], v4, s[8:9]
	v_mul_lo_u16_sdwa v4, v5, s7 dst_sel:DWORD dst_unused:UNUSED_PAD src0_sel:BYTE_0 src1_sel:DWORD
	v_lshrrev_b16_e32 v25, 11, v4
	v_mul_lo_u16_e32 v4, 10, v25
	v_sub_u16_e32 v26, v5, v4
	v_lshlrev_b32_sdwa v2, v2, v26 dst_sel:DWORD dst_unused:UNUSED_PAD src0_sel:DWORD src1_sel:BYTE_0
	global_load_dwordx4 v[19:22], v2, s[8:9]
	s_movk_i32 s7, 0xffdc
	v_mad_i32_i24 v12, v14, s7, v3
	ds_read2_b32 v[2:3], v12 offset0:130 offset1:195
	v_add_u32_e32 v11, 0x400, v12
	ds_read2_b32 v[15:16], v11 offset0:4 offset1:69
	ds_read2_b32 v[23:24], v11 offset0:134 offset1:199
	v_add_u32_e32 v18, 0x800, v12
	v_lshl_add_u32 v27, v14, 2, v31
	s_waitcnt lgkmcnt(2)
	v_lshrrev_b32_e32 v4, 16, v2
	s_movk_i32 s7, 0xc8
	v_mad_u32_u24 v10, v10, s7, 0
	s_waitcnt vmcnt(1)
	v_mul_f16_sdwa v17, v6, v4 dst_sel:DWORD dst_unused:UNUSED_PAD src0_sel:WORD_1 src1_sel:DWORD
	v_fma_f16 v17, v6, v2, -v17
	v_mul_f16_sdwa v2, v6, v2 dst_sel:DWORD dst_unused:UNUSED_PAD src0_sel:WORD_1 src1_sel:DWORD
	v_fma_f16 v28, v6, v4, v2
	s_waitcnt lgkmcnt(1)
	v_lshrrev_b32_e32 v2, 16, v15
	v_mul_f16_sdwa v4, v7, v15 dst_sel:DWORD dst_unused:UNUSED_PAD src0_sel:WORD_1 src1_sel:DWORD
	v_fma_f16 v29, v7, v2, v4
	v_mul_f16_sdwa v2, v7, v2 dst_sel:DWORD dst_unused:UNUSED_PAD src0_sel:WORD_1 src1_sel:DWORD
	v_fma_f16 v32, v7, v15, -v2
	ds_read2_b32 v[6:7], v18 offset0:8 offset1:73
	s_waitcnt lgkmcnt(1)
	v_lshrrev_b32_e32 v2, 16, v23
	v_mul_f16_sdwa v4, v8, v23 dst_sel:DWORD dst_unused:UNUSED_PAD src0_sel:WORD_1 src1_sel:DWORD
	v_fma_f16 v33, v8, v2, v4
	v_mul_f16_sdwa v2, v8, v2 dst_sel:DWORD dst_unused:UNUSED_PAD src0_sel:WORD_1 src1_sel:DWORD
	v_fma_f16 v8, v8, v23, -v2
	s_waitcnt lgkmcnt(0)
	v_lshrrev_b32_e32 v2, 16, v6
	v_mul_f16_sdwa v4, v9, v6 dst_sel:DWORD dst_unused:UNUSED_PAD src0_sel:WORD_1 src1_sel:DWORD
	v_fma_f16 v23, v9, v2, v4
	v_mul_f16_sdwa v2, v9, v2 dst_sel:DWORD dst_unused:UNUSED_PAD src0_sel:WORD_1 src1_sel:DWORD
	v_fma_f16 v9, v9, v6, -v2
	ds_read_u16 v2, v12 offset:782
	v_lshl_add_u32 v4, v5, 2, v31
	ds_read_b32 v31, v4
	ds_read_b32 v34, v27
	v_sub_f16_e32 v15, v29, v33
	s_waitcnt vmcnt(0) lgkmcnt(0)
	v_mul_f16_sdwa v4, v2, v19 dst_sel:DWORD dst_unused:UNUSED_PAD src0_sel:DWORD src1_sel:WORD_1
	v_fma_f16 v35, v19, v3, -v4
	v_mul_f16_sdwa v3, v19, v3 dst_sel:DWORD dst_unused:UNUSED_PAD src0_sel:WORD_1 src1_sel:DWORD
	v_fma_f16 v36, v2, v19, v3
	v_lshrrev_b32_e32 v2, 16, v16
	v_mul_f16_sdwa v3, v2, v20 dst_sel:DWORD dst_unused:UNUSED_PAD src0_sel:DWORD src1_sel:WORD_1
	v_fma_f16 v37, v16, v20, -v3
	v_mul_f16_sdwa v3, v16, v20 dst_sel:DWORD dst_unused:UNUSED_PAD src0_sel:DWORD src1_sel:WORD_1
	v_fma_f16 v38, v2, v20, v3
	v_lshrrev_b32_e32 v2, 16, v24
	v_mul_f16_sdwa v3, v2, v21 dst_sel:DWORD dst_unused:UNUSED_PAD src0_sel:DWORD src1_sel:WORD_1
	v_fma_f16 v39, v24, v21, -v3
	v_mul_f16_sdwa v3, v24, v21 dst_sel:DWORD dst_unused:UNUSED_PAD src0_sel:DWORD src1_sel:WORD_1
	;; [unrolled: 5-line block ×3, first 2 shown]
	v_fma_f16 v22, v2, v22, v3
	v_sub_f16_e32 v2, v17, v32
	v_sub_f16_e32 v3, v9, v8
	v_add_f16_e32 v4, v2, v3
	v_sub_f16_e32 v2, v32, v17
	v_sub_f16_e32 v3, v8, v9
	v_add_f16_e32 v6, v2, v3
	v_add_f16_e32 v2, v32, v8
	v_fma_f16 v5, v2, -0.5, v34
	v_sub_f16_e32 v7, v28, v23
	v_add_f16_e32 v3, v17, v9
	v_fma_f16 v2, v7, s0, v5
	v_fma_f16 v16, v3, -0.5, v34
	v_fma_f16 v5, v7, s5, v5
	v_fma_f16 v2, v15, s1, v2
	;; [unrolled: 1-line block ×11, first 2 shown]
	v_sub_f16_e32 v6, v37, v35
	v_sub_f16_e32 v7, v39, v24
	v_add_f16_e32 v7, v6, v7
	v_add_f16_e32 v6, v35, v24
	v_fma_f16 v6, v6, -0.5, v31
	v_sub_f16_e32 v42, v38, v40
	v_sub_f16_e32 v41, v36, v22
	v_fma_f16 v15, v42, s5, v6
	v_fma_f16 v15, v41, s1, v15
	;; [unrolled: 1-line block ×5, first 2 shown]
	v_add_f16_e32 v15, v34, v17
	v_add_f16_e32 v15, v15, v32
	;; [unrolled: 1-line block ×3, first 2 shown]
	v_sub_f16_e32 v8, v32, v8
	v_mov_b32_e32 v32, 2
	v_fma_f16 v7, v7, s4, v16
	v_add_f16_e32 v15, v15, v9
	v_sub_f16_e32 v9, v17, v9
	v_sub_f16_e32 v16, v28, v29
	;; [unrolled: 1-line block ×3, first 2 shown]
	v_lshlrev_b32_sdwa v13, v32, v13 dst_sel:DWORD dst_unused:UNUSED_PAD src0_sel:DWORD src1_sel:BYTE_0
	v_add_f16_e32 v21, v16, v17
	v_add3_u32 v10, v10, v13, v30
	v_lshrrev_b32_e32 v13, 16, v34
	v_add_f16_e32 v17, v29, v33
	v_add_f16_e32 v16, v13, v28
	v_fma_f16 v34, v17, -0.5, v13
	v_add_f16_e32 v16, v16, v29
	v_fma_f16 v17, v9, s5, v34
	v_add_f16_e32 v16, v16, v33
	v_fma_f16 v17, v8, s6, v17
	;; [unrolled: 2-line block ×3, first 2 shown]
	v_pack_b32_f16 v19, v15, v16
	v_pack_b32_f16 v20, v2, v17
	s_barrier
	ds_write2_b32 v10, v19, v20 offset1:10
	v_add_f16_e32 v19, v28, v23
	v_fma_f16 v13, v19, -0.5, v13
	v_sub_f16_e32 v19, v29, v28
	v_sub_f16_e32 v20, v33, v23
	v_add_f16_e32 v20, v19, v20
	v_fma_f16 v19, v8, s0, v13
	v_fma_f16 v13, v8, s5, v13
	;; [unrolled: 1-line block ×9, first 2 shown]
	v_pack_b32_f16 v8, v5, v21
	v_pack_b32_f16 v13, v3, v19
	;; [unrolled: 1-line block ×3, first 2 shown]
	ds_write_b32 v10, v8 offset:160
	v_lshlrev_b32_sdwa v8, v32, v26 dst_sel:DWORD dst_unused:UNUSED_PAD src0_sel:DWORD src1_sel:BYTE_0
	v_mad_u32_u24 v9, v25, s7, 0
	ds_write2_b32 v10, v13, v23 offset0:20 offset1:30
	v_add3_u32 v13, v9, v8, v30
	v_sub_f16_e32 v8, v35, v37
	v_sub_f16_e32 v9, v24, v39
	v_add_f16_e32 v10, v8, v9
	v_add_f16_e32 v8, v31, v35
	;; [unrolled: 1-line block ×5, first 2 shown]
	v_sub_f16_e32 v28, v35, v24
	v_sub_f16_e32 v23, v36, v38
	;; [unrolled: 1-line block ×3, first 2 shown]
	v_add_f16_e32 v9, v37, v39
	v_add_f16_e32 v30, v23, v24
	v_lshrrev_b32_e32 v26, 16, v31
	v_add_f16_e32 v24, v38, v40
	v_fma_f16 v25, v9, -0.5, v31
	v_add_f16_e32 v23, v26, v36
	v_fma_f16 v31, v24, -0.5, v26
	v_fma_f16 v9, v41, s0, v25
	v_sub_f16_e32 v29, v37, v39
	v_add_f16_e32 v23, v23, v38
	v_fma_f16 v24, v28, s5, v31
	v_fma_f16 v9, v42, s1, v9
	v_add_f16_e32 v23, v23, v40
	v_fma_f16 v24, v29, s6, v24
	v_fma_f16 v9, v10, s4, v9
	v_add_f16_e32 v23, v23, v22
	v_fma_f16 v24, v30, s4, v24
	v_pack_b32_f16 v32, v8, v23
	v_pack_b32_f16 v33, v9, v24
	ds_write2_b32 v13, v32, v33 offset1:10
	v_add_f16_e32 v32, v36, v22
	v_fma_f16 v32, v32, -0.5, v26
	v_sub_f16_e32 v26, v38, v36
	v_sub_f16_e32 v22, v40, v22
	v_add_f16_e32 v22, v26, v22
	v_fma_f16 v26, v29, s0, v32
	v_fma_f16 v32, v29, s5, v32
	v_fma_f16 v26, v28, s6, v26
	v_fma_f16 v32, v28, s1, v32
	v_fma_f16 v25, v41, s5, v25
	v_fma_f16 v28, v28, s0, v31
	v_fma_f16 v25, v42, s6, v25
	v_fma_f16 v28, v29, s1, v28
	v_fma_f16 v26, v22, s4, v26
	v_fma_f16 v22, v22, s4, v32
	v_fma_f16 v10, v10, s4, v25
	v_fma_f16 v25, v30, s4, v28
	v_pack_b32_f16 v32, v6, v26
	v_pack_b32_f16 v33, v7, v22
	;; [unrolled: 1-line block ×3, first 2 shown]
	v_cmp_gt_u32_e64 s[0:1], 50, v14
	ds_write2_b32 v13, v32, v33 offset0:20 offset1:30
	ds_write_b32 v13, v28 offset:160
	s_waitcnt lgkmcnt(0)
	s_barrier
	s_waitcnt lgkmcnt(0)
                                        ; implicit-def: $vgpr30
                                        ; implicit-def: $vgpr29
                                        ; implicit-def: $vgpr28
                                        ; implicit-def: $vgpr13
	s_and_saveexec_b64 s[4:5], s[0:1]
	s_cbranch_execnz .LBB0_15
; %bb.13:
	s_or_b64 exec, exec, s[4:5]
	s_and_b64 s[0:1], vcc, s[0:1]
	s_and_saveexec_b64 s[4:5], s[0:1]
	s_cbranch_execnz .LBB0_16
.LBB0_14:
	s_endpgm
.LBB0_15:
	v_add_u32_e32 v8, 0x200, v12
	ds_read_b32 v15, v27
	ds_read2_b32 v[2:3], v12 offset0:50 offset1:100
	ds_read2_b32 v[4:5], v12 offset0:150 offset1:200
	ds_read2_b32 v[6:7], v11 offset0:94 offset1:144
	ds_read2_b32 v[10:11], v11 offset0:194 offset1:244
	ds_read2_b32 v[12:13], v18 offset0:38 offset1:88
	ds_read2_b32 v[8:9], v8 offset0:122 offset1:172
	s_waitcnt lgkmcnt(6)
	v_lshrrev_b32_e32 v16, 16, v15
	s_waitcnt lgkmcnt(5)
	v_lshrrev_b32_e32 v17, 16, v2
	;; [unrolled: 2-line block ×4, first 2 shown]
	v_lshrrev_b32_e32 v28, 16, v11
	s_waitcnt lgkmcnt(1)
	v_lshrrev_b32_e32 v29, 16, v12
	v_lshrrev_b32_e32 v30, 16, v13
	;; [unrolled: 1-line block ×5, first 2 shown]
	s_waitcnt lgkmcnt(0)
	v_lshrrev_b32_e32 v23, 16, v8
	v_lshrrev_b32_e32 v24, 16, v9
	;; [unrolled: 1-line block ×3, first 2 shown]
	s_or_b64 exec, exec, s[4:5]
	s_and_b64 s[0:1], vcc, s[0:1]
	s_and_saveexec_b64 s[4:5], s[0:1]
	s_cbranch_execz .LBB0_14
.LBB0_16:
	v_mul_u32_u24_e32 v18, 12, v14
	v_lshlrev_b32_e32 v18, 2, v18
	global_load_dwordx4 v[31:34], v18, s[8:9] offset:192
	global_load_dwordx4 v[35:38], v18, s[8:9] offset:160
	;; [unrolled: 1-line block ×3, first 2 shown]
	s_mov_b32 s0, 0xbbc4
	s_movk_i32 s4, 0x3b15
	s_mov_b32 s1, 0xb9fd
	s_movk_i32 s5, 0x388b
	;; [unrolled: 2-line block ×3, first 2 shown]
	s_waitcnt vmcnt(2)
	v_mul_f16_sdwa v18, v30, v34 dst_sel:DWORD dst_unused:UNUSED_PAD src0_sel:DWORD src1_sel:WORD_1
	s_waitcnt vmcnt(1)
	v_mul_f16_sdwa v49, v17, v35 dst_sel:DWORD dst_unused:UNUSED_PAD src0_sel:DWORD src1_sel:WORD_1
	v_mul_f16_sdwa v27, v13, v34 dst_sel:DWORD dst_unused:UNUSED_PAD src0_sel:DWORD src1_sel:WORD_1
	;; [unrolled: 1-line block ×6, first 2 shown]
	v_fma_f16 v13, v13, v34, -v18
	v_fma_f16 v2, v2, v35, -v49
	v_mul_f16_sdwa v45, v28, v32 dst_sel:DWORD dst_unused:UNUSED_PAD src0_sel:DWORD src1_sel:WORD_1
	v_mul_f16_sdwa v47, v25, v31 dst_sel:DWORD dst_unused:UNUSED_PAD src0_sel:DWORD src1_sel:WORD_1
	;; [unrolled: 1-line block ×5, first 2 shown]
	v_fma_f16 v12, v12, v33, -v43
	v_fma_f16 v18, v30, v34, v27
	v_fma_f16 v27, v29, v33, v44
	v_fma_f16 v3, v3, v36, -v51
	v_fma_f16 v17, v17, v35, v50
	v_sub_f16_e32 v29, v2, v13
	v_mul_f16_sdwa v46, v11, v32 dst_sel:DWORD dst_unused:UNUSED_PAD src0_sel:DWORD src1_sel:WORD_1
	v_mul_f16_sdwa v54, v4, v37 dst_sel:DWORD dst_unused:UNUSED_PAD src0_sel:DWORD src1_sel:WORD_1
	;; [unrolled: 1-line block ×3, first 2 shown]
	v_fma_f16 v11, v11, v32, -v45
	v_fma_f16 v10, v10, v31, -v47
	v_fma_f16 v25, v25, v31, v48
	v_fma_f16 v4, v4, v37, -v53
	v_fma_f16 v19, v19, v36, v52
	v_add_f16_e32 v30, v17, v18
	v_sub_f16_e32 v31, v3, v12
	v_mul_f16_e32 v43, 0xb3a8, v29
	v_mul_f16_sdwa v56, v5, v38 dst_sel:DWORD dst_unused:UNUSED_PAD src0_sel:DWORD src1_sel:WORD_1
	s_waitcnt vmcnt(0)
	v_mul_f16_sdwa v57, v23, v39 dst_sel:DWORD dst_unused:UNUSED_PAD src0_sel:DWORD src1_sel:WORD_1
	v_mul_f16_sdwa v58, v22, v42 dst_sel:DWORD dst_unused:UNUSED_PAD src0_sel:DWORD src1_sel:WORD_1
	v_fma_f16 v28, v28, v32, v46
	v_fma_f16 v5, v5, v38, -v55
	v_fma_f16 v20, v20, v37, v54
	v_add_f16_e32 v32, v19, v27
	v_sub_f16_e32 v33, v4, v11
	v_mul_f16_e32 v44, 0x3770, v31
	v_fma_f16 v50, v30, s0, v43
	v_mul_f16_sdwa v59, v7, v42 dst_sel:DWORD dst_unused:UNUSED_PAD src0_sel:DWORD src1_sel:WORD_1
	v_mul_f16_sdwa v60, v8, v39 dst_sel:DWORD dst_unused:UNUSED_PAD src0_sel:DWORD src1_sel:WORD_1
	;; [unrolled: 1-line block ×4, first 2 shown]
	v_fma_f16 v21, v21, v38, v56
	v_fma_f16 v8, v8, v39, -v57
	v_fma_f16 v7, v7, v42, -v58
	v_add_f16_e32 v34, v20, v28
	v_sub_f16_e32 v35, v5, v10
	v_mul_f16_e32 v45, 0xb94e, v33
	v_fma_f16 v51, v32, s4, v44
	v_add_f16_e32 v50, v16, v50
	v_mul_f16_sdwa v63, v6, v41 dst_sel:DWORD dst_unused:UNUSED_PAD src0_sel:DWORD src1_sel:WORD_1
	v_mul_f16_sdwa v64, v9, v40 dst_sel:DWORD dst_unused:UNUSED_PAD src0_sel:DWORD src1_sel:WORD_1
	v_fma_f16 v22, v22, v42, v59
	v_fma_f16 v23, v23, v39, v60
	v_fma_f16 v9, v9, v40, -v61
	v_fma_f16 v6, v6, v41, -v62
	v_add_f16_e32 v36, v21, v25
	v_sub_f16_e32 v37, v8, v7
	v_mul_f16_e32 v46, 0x3a95, v35
	v_fma_f16 v52, v34, s1, v45
	v_add_f16_e32 v50, v50, v51
	v_fma_f16 v26, v26, v41, v63
	v_fma_f16 v24, v24, v40, v64
	v_add_f16_e32 v38, v23, v22
	v_sub_f16_e32 v39, v9, v6
	v_sub_f16_e32 v42, v17, v18
	v_mul_f16_e32 v47, 0xbb7b, v37
	v_fma_f16 v53, v36, s5, v46
	v_add_f16_e32 v50, v50, v52
	v_add_f16_e32 v40, v24, v26
	;; [unrolled: 1-line block ×3, first 2 shown]
	v_mul_f16_e32 v48, 0x3bf1, v39
	v_mul_f16_e32 v49, 0xb3a8, v42
	v_fma_f16 v54, v38, s6, v47
	v_add_f16_e32 v50, v50, v53
	v_sub_f16_e32 v53, v19, v27
	v_fma_f16 v55, v40, s7, v48
	v_fma_f16 v56, v41, s0, -v49
	v_add_f16_e32 v50, v50, v54
	v_add_f16_e32 v52, v3, v12
	v_mul_f16_e32 v54, 0x3770, v53
	v_add_f16_e32 v50, v50, v55
	v_add_f16_e32 v51, v15, v56
	v_fma_f16 v55, v52, s4, -v54
	v_sub_f16_e32 v56, v20, v28
	v_add_f16_e32 v51, v51, v55
	v_add_f16_e32 v55, v4, v11
	v_mul_f16_e32 v57, 0xb94e, v56
	v_fma_f16 v58, v55, s1, -v57
	v_sub_f16_e32 v59, v21, v25
	v_add_f16_e32 v51, v51, v58
	v_add_f16_e32 v58, v5, v10
	v_mul_f16_e32 v60, 0x3a95, v59
	;; [unrolled: 5-line block ×4, first 2 shown]
	v_fma_f16 v67, v64, s7, -v66
	v_add_f16_e32 v51, v51, v67
	v_mul_f16_e32 v67, 0xb94e, v29
	v_fma_f16 v68, v30, s1, v67
	v_mul_f16_e32 v69, 0x3bf1, v31
	v_add_f16_e32 v68, v16, v68
	v_fma_f16 v70, v32, s7, v69
	v_add_f16_e32 v68, v68, v70
	v_mul_f16_e32 v70, 0xba95, v33
	v_fma_f16 v71, v34, s5, v70
	v_add_f16_e32 v68, v68, v71
	v_mul_f16_e32 v71, 0x33a8, v35
	v_fma_f16 v72, v36, s0, v71
	v_add_f16_e32 v2, v15, v2
	v_add_f16_e32 v68, v68, v72
	v_mul_f16_e32 v72, 0x3770, v37
	v_add_f16_e32 v2, v2, v3
	v_fma_f16 v73, v38, s4, v72
	v_add_f16_e32 v2, v2, v4
	v_add_f16_e32 v68, v68, v73
	v_mul_f16_e32 v73, 0xbb7b, v39
	v_add_f16_e32 v2, v2, v5
	;; [unrolled: 5-line block ×3, first 2 shown]
	v_fma_f16 v75, v41, s1, -v74
	v_mul_f16_e32 v76, 0x3bf1, v53
	v_add_f16_e32 v2, v2, v6
	v_add_f16_e32 v75, v15, v75
	v_fma_f16 v77, v52, s7, -v76
	v_add_f16_e32 v2, v7, v2
	v_add_f16_e32 v75, v75, v77
	v_mul_f16_e32 v77, 0xba95, v56
	v_add_f16_e32 v2, v10, v2
	v_fma_f16 v78, v55, s5, -v77
	v_add_f16_e32 v2, v11, v2
	v_add_f16_e32 v75, v75, v78
	v_mul_f16_e32 v78, 0x33a8, v59
	v_add_f16_e32 v2, v12, v2
	v_fma_f16 v79, v58, s0, -v78
	v_add_f16_e32 v5, v13, v2
	v_add_f16_e32 v2, v16, v17
	;; [unrolled: 1-line block ×3, first 2 shown]
	v_mul_f16_e32 v79, 0x3770, v62
	v_add_f16_e32 v2, v2, v19
	v_fma_f16 v80, v61, s4, -v79
	v_add_f16_e32 v2, v2, v20
	v_add_f16_e32 v75, v75, v80
	v_mul_f16_e32 v80, 0xbb7b, v65
	v_add_f16_e32 v2, v2, v21
	v_fma_f16 v81, v64, s6, -v80
	v_add_f16_e32 v2, v2, v23
	v_add_f16_e32 v75, v75, v81
	v_mul_f16_e32 v81, 0xbb7b, v29
	v_add_f16_e32 v2, v2, v24
	v_fma_f16 v82, v30, s6, v81
	v_mul_f16_e32 v83, 0x394e, v31
	v_add_f16_e32 v2, v2, v26
	v_add_f16_e32 v82, v16, v82
	v_fma_f16 v84, v32, s1, v83
	v_add_f16_e32 v2, v22, v2
	v_add_f16_e32 v82, v82, v84
	v_mul_f16_e32 v84, 0x3770, v33
	v_add_f16_e32 v2, v25, v2
	v_fma_f16 v85, v34, s4, v84
	v_add_f16_e32 v2, v28, v2
	v_add_f16_e32 v82, v82, v85
	v_mul_f16_e32 v85, 0xbbf1, v35
	v_add_f16_e32 v2, v27, v2
	v_fma_f16 v86, v36, s7, v85
	v_add_f16_e32 v6, v18, v2
	v_fma_f16 v2, v30, s0, -v43
	v_add_f16_e32 v82, v82, v86
	v_mul_f16_e32 v86, 0x33a8, v37
	v_add_f16_e32 v2, v16, v2
	v_fma_f16 v3, v32, s4, -v44
	v_fma_f16 v87, v38, s0, v86
	v_add_f16_e32 v2, v2, v3
	v_fma_f16 v3, v34, s1, -v45
	v_add_f16_e32 v82, v82, v87
	v_mul_f16_e32 v87, 0x3a95, v39
	v_add_f16_e32 v2, v2, v3
	v_fma_f16 v3, v36, s5, -v46
	;; [unrolled: 7-line block ×3, first 2 shown]
	v_fma_f16 v89, v41, s6, -v88
	v_mul_f16_e32 v90, 0x394e, v53
	v_add_f16_e32 v7, v2, v3
	v_fma_f16 v2, v41, s0, v49
	v_add_f16_e32 v89, v15, v89
	v_fma_f16 v91, v52, s1, -v90
	v_add_f16_e32 v2, v15, v2
	v_fma_f16 v3, v52, s4, v54
	v_add_f16_e32 v89, v89, v91
	v_mul_f16_e32 v91, 0x3770, v56
	v_add_f16_e32 v2, v2, v3
	v_fma_f16 v3, v55, s1, v57
	v_fma_f16 v92, v55, s4, -v91
	v_add_f16_e32 v2, v2, v3
	v_fma_f16 v3, v58, s5, v60
	v_add_f16_e32 v89, v89, v92
	v_mul_f16_e32 v92, 0xbbf1, v59
	v_add_f16_e32 v2, v2, v3
	v_fma_f16 v3, v61, s6, v63
	v_fma_f16 v93, v58, s7, -v92
	v_add_f16_e32 v2, v2, v3
	v_fma_f16 v3, v64, s7, v66
	v_add_f16_e32 v89, v89, v93
	v_mul_f16_e32 v93, 0x33a8, v62
	v_add_f16_e32 v8, v2, v3
	v_fma_f16 v2, v30, s1, -v67
	v_fma_f16 v94, v61, s0, -v93
	v_add_f16_e32 v2, v16, v2
	v_fma_f16 v3, v32, s7, -v69
	v_add_f16_e32 v89, v89, v94
	v_mul_f16_e32 v94, 0x3a95, v65
	v_add_f16_e32 v2, v2, v3
	v_fma_f16 v3, v34, s5, -v70
	v_fma_f16 v95, v64, s5, -v94
	v_add_f16_e32 v2, v2, v3
	v_fma_f16 v3, v36, s0, -v71
	v_add_f16_e32 v89, v89, v95
	v_mul_f16_e32 v95, 0xbbf1, v29
	v_add_f16_e32 v2, v2, v3
	v_fma_f16 v3, v38, s4, -v72
	v_fma_f16 v96, v30, s7, v95
	v_mul_f16_e32 v97, 0xb3a8, v31
	v_add_f16_e32 v2, v2, v3
	v_fma_f16 v3, v40, s6, -v73
	v_add_f16_e32 v96, v16, v96
	v_fma_f16 v98, v32, s0, v97
	v_add_f16_e32 v9, v2, v3
	v_fma_f16 v2, v41, s1, v74
	v_add_f16_e32 v96, v96, v98
	v_mul_f16_e32 v98, 0x3b7b, v33
	v_add_f16_e32 v2, v15, v2
	v_fma_f16 v3, v52, s7, v76
	v_fma_f16 v99, v34, s6, v98
	v_add_f16_e32 v2, v2, v3
	v_fma_f16 v3, v55, s5, v77
	v_add_f16_e32 v96, v96, v99
	v_mul_f16_e32 v99, 0x3770, v35
	v_add_f16_e32 v2, v2, v3
	v_fma_f16 v3, v58, s0, v78
	v_fma_f16 v100, v36, s4, v99
	v_add_f16_e32 v2, v2, v3
	v_fma_f16 v3, v61, s4, v79
	v_add_f16_e32 v96, v96, v100
	v_mul_f16_e32 v100, 0xba95, v37
	v_add_f16_e32 v2, v2, v3
	v_fma_f16 v3, v64, s6, v80
	v_fma_f16 v101, v38, s5, v100
	v_add_f16_e32 v10, v2, v3
	v_fma_f16 v2, v30, s6, -v81
	v_add_f16_e32 v96, v96, v101
	v_mul_f16_e32 v101, 0xb94e, v39
	v_add_f16_e32 v2, v16, v2
	v_fma_f16 v3, v32, s1, -v83
	v_fma_f16 v102, v40, s1, v101
	v_add_f16_e32 v2, v2, v3
	v_fma_f16 v3, v34, s4, -v84
	v_add_f16_e32 v96, v96, v102
	v_mul_f16_e32 v102, 0xbbf1, v42
	v_add_f16_e32 v2, v2, v3
	v_fma_f16 v3, v36, s7, -v85
	v_fma_f16 v103, v41, s7, -v102
	v_mul_f16_e32 v104, 0xb3a8, v53
	v_add_f16_e32 v2, v2, v3
	v_fma_f16 v3, v38, s0, -v86
	v_add_f16_e32 v103, v15, v103
	v_fma_f16 v105, v52, s0, -v104
	;; [unrolled: 2-line block ×3, first 2 shown]
	v_add_f16_e32 v103, v103, v105
	v_mul_f16_e32 v105, 0x3b7b, v56
	v_add_f16_e32 v11, v2, v3
	v_fma_f16 v2, v41, s6, v88
	v_fma_f16 v106, v55, s6, -v105
	v_add_f16_e32 v2, v15, v2
	v_fma_f16 v3, v52, s1, v90
	v_add_f16_e32 v103, v103, v106
	v_mul_f16_e32 v106, 0x3770, v59
	v_add_f16_e32 v2, v2, v3
	v_fma_f16 v3, v55, s4, v91
	v_fma_f16 v107, v58, s4, -v106
	v_add_f16_e32 v2, v2, v3
	v_fma_f16 v3, v58, s7, v92
	;; [unrolled: 7-line block ×3, first 2 shown]
	v_add_f16_e32 v103, v103, v108
	v_mul_f16_e32 v108, 0xb94e, v65
	v_add_f16_e32 v12, v2, v3
	v_fma_f16 v2, v30, s7, -v95
	v_fma_f16 v109, v64, s1, -v108
	v_add_f16_e32 v2, v16, v2
	v_fma_f16 v3, v32, s0, -v97
	v_add_f16_e32 v103, v103, v109
	v_mul_f16_e32 v109, 0xba95, v29
	v_add_f16_e32 v2, v2, v3
	v_fma_f16 v3, v34, s6, -v98
	v_fma_f16 v110, v30, s5, v109
	v_mul_f16_e32 v111, 0xbb7b, v31
	v_add_f16_e32 v2, v2, v3
	v_fma_f16 v3, v36, s4, -v99
	v_add_f16_e32 v110, v16, v110
	v_fma_f16 v112, v32, s6, v111
	v_add_f16_e32 v2, v2, v3
	v_fma_f16 v3, v38, s5, -v100
	v_add_f16_e32 v110, v110, v112
	v_mul_f16_e32 v112, 0xb3a8, v33
	v_add_f16_e32 v2, v2, v3
	v_fma_f16 v3, v40, s1, -v101
	v_fma_f16 v113, v34, s0, v112
	v_add_f16_e32 v13, v2, v3
	v_fma_f16 v2, v41, s7, v102
	v_add_f16_e32 v110, v110, v113
	v_mul_f16_e32 v113, 0x394e, v35
	v_add_f16_e32 v2, v15, v2
	v_fma_f16 v3, v52, s0, v104
	v_fma_f16 v114, v36, s1, v113
	v_add_f16_e32 v2, v2, v3
	v_fma_f16 v3, v55, s6, v105
	v_add_f16_e32 v110, v110, v114
	v_mul_f16_e32 v114, 0x3bf1, v37
	v_add_f16_e32 v2, v2, v3
	v_fma_f16 v3, v58, s4, v106
	;; [unrolled: 7-line block ×3, first 2 shown]
	v_fma_f16 v116, v40, s4, v115
	v_add_f16_e32 v17, v2, v3
	v_fma_f16 v2, v30, s5, -v109
	v_add_f16_e32 v110, v110, v116
	v_mul_f16_e32 v116, 0xba95, v42
	v_add_f16_e32 v2, v16, v2
	v_fma_f16 v3, v32, s6, -v111
	v_fma_f16 v117, v41, s5, -v116
	v_mul_f16_e32 v118, 0xbb7b, v53
	v_add_f16_e32 v2, v2, v3
	v_fma_f16 v3, v34, s0, -v112
	v_add_f16_e32 v117, v15, v117
	v_fma_f16 v119, v52, s6, -v118
	;; [unrolled: 2-line block ×3, first 2 shown]
	v_add_f16_e32 v117, v117, v119
	v_mul_f16_e32 v119, 0xb3a8, v56
	v_add_f16_e32 v2, v2, v3
	v_fma_f16 v3, v38, s7, -v114
	v_fma_f16 v120, v55, s0, -v119
	v_add_f16_e32 v2, v2, v3
	v_fma_f16 v3, v40, s4, -v115
	v_add_f16_e32 v117, v117, v120
	v_mul_f16_e32 v120, 0x394e, v59
	v_add_f16_e32 v18, v2, v3
	v_fma_f16 v2, v41, s5, v116
	v_fma_f16 v121, v58, s1, -v120
	v_add_f16_e32 v2, v15, v2
	v_fma_f16 v3, v52, s6, v118
	v_add_f16_e32 v117, v117, v121
	v_mul_f16_e32 v121, 0x3bf1, v62
	v_add_f16_e32 v2, v2, v3
	v_fma_f16 v3, v55, s0, v119
	v_fma_f16 v122, v61, s7, -v121
	v_add_f16_e32 v2, v2, v3
	v_fma_f16 v3, v58, s1, v120
	v_add_f16_e32 v117, v117, v122
	v_mul_f16_e32 v122, 0x3770, v65
	v_add_f16_e32 v2, v2, v3
	v_fma_f16 v3, v61, s7, v121
	v_mul_f16_e32 v29, 0xb770, v29
	v_add_f16_e32 v2, v2, v3
	v_fma_f16 v3, v64, s4, v122
	v_mul_f16_e32 v31, 0xba95, v31
	v_add_f16_e32 v19, v2, v3
	v_fma_f16 v2, v30, s4, -v29
	v_mul_f16_e32 v33, 0xbbf1, v33
	v_add_f16_e32 v2, v16, v2
	v_fma_f16 v3, v32, s5, -v31
	v_fma_f16 v123, v64, s4, -v122
	v_mul_f16_e32 v35, 0xbb7b, v35
	v_add_f16_e32 v2, v2, v3
	v_fma_f16 v3, v34, s7, -v33
	v_add_f16_e32 v117, v117, v123
	v_fma_f16 v123, v30, s4, v29
	v_mul_f16_e32 v37, 0xb94e, v37
	v_add_f16_e32 v2, v2, v3
	v_fma_f16 v3, v36, s6, -v35
	v_add_f16_e32 v123, v16, v123
	v_fma_f16 v124, v32, s5, v31
	;; [unrolled: 5-line block ×4, first 2 shown]
	v_mul_f16_e32 v53, 0xba95, v53
	v_add_f16_e32 v16, v2, v3
	v_fma_f16 v2, v41, s4, v42
	v_add_f16_e32 v123, v123, v124
	v_fma_f16 v124, v38, s1, v37
	v_mul_f16_e32 v56, 0xbbf1, v56
	v_add_f16_e32 v2, v15, v2
	v_fma_f16 v3, v52, s5, v53
	v_add_f16_e32 v123, v123, v124
	v_fma_f16 v124, v40, s0, v39
	;; [unrolled: 2-line block ×3, first 2 shown]
	v_add_f16_e32 v123, v123, v124
	v_fma_f16 v124, v41, s4, -v42
	v_fma_f16 v125, v52, s5, -v53
	v_add_f16_e32 v4, v2, v3
	v_mad_u64_u32 v[2:3], s[4:5], s2, v14, 0
	v_mul_f16_e32 v59, 0xbb7b, v59
	v_add_f16_e32 v124, v15, v124
	v_mul_f16_e32 v62, 0xb94e, v62
	v_fma_f16 v15, v58, s6, v59
	v_mul_f16_e32 v65, 0xb3a8, v65
	v_add_f16_e32 v15, v4, v15
	v_fma_f16 v20, v61, s1, v62
	v_mad_u64_u32 v[3:4], s[4:5], s3, v14, v[3:4]
	v_add_f16_e32 v124, v124, v125
	v_fma_f16 v125, v55, s7, -v56
	v_add_f16_e32 v4, v15, v20
	v_fma_f16 v15, v64, s0, v65
	v_add_f16_e32 v124, v124, v125
	v_fma_f16 v125, v58, s6, -v59
	v_add_f16_e32 v15, v4, v15
	v_mov_b32_e32 v4, s13
	v_add_co_u32_e32 v20, vcc, s12, v0
	v_add_f16_e32 v124, v124, v125
	v_fma_f16 v125, v61, s1, -v62
	v_addc_co_u32_e32 v21, vcc, v4, v1, vcc
	v_add_u32_e32 v4, 50, v14
	v_add_f16_e32 v124, v124, v125
	v_fma_f16 v125, v64, s0, -v65
	v_lshlrev_b64 v[0:1], 2, v[2:3]
	v_mad_u64_u32 v[2:3], s[0:1], s2, v4, 0
	v_add_u32_e32 v22, 0x64, v14
	v_pack_b32_f16 v6, v5, v6
	v_mad_u64_u32 v[3:4], s[0:1], s3, v4, v[3:4]
	v_mad_u64_u32 v[4:5], s[0:1], s2, v22, 0
	v_add_co_u32_e32 v0, vcc, v20, v0
	v_addc_co_u32_e32 v1, vcc, v21, v1, vcc
	global_store_dword v[0:1], v6, off
	v_lshlrev_b64 v[0:1], 2, v[2:3]
	v_mov_b32_e32 v2, v5
	v_mad_u64_u32 v[2:3], s[0:1], s3, v22, v[2:3]
	v_add_f16_e32 v124, v124, v125
	v_add_co_u32_e32 v0, vcc, v20, v0
	v_addc_co_u32_e32 v1, vcc, v21, v1, vcc
	v_pack_b32_f16 v3, v124, v123
	v_mov_b32_e32 v5, v2
	global_store_dword v[0:1], v3, off
	v_lshlrev_b64 v[0:1], 2, v[4:5]
	v_add_u32_e32 v4, 0x96, v14
	v_mad_u64_u32 v[2:3], s[0:1], s2, v4, 0
	v_add_u32_e32 v22, 0xc8, v14
	v_add_co_u32_e32 v0, vcc, v20, v0
	v_mad_u64_u32 v[3:4], s[0:1], s3, v4, v[3:4]
	v_mad_u64_u32 v[4:5], s[0:1], s2, v22, 0
	v_addc_co_u32_e32 v1, vcc, v21, v1, vcc
	v_pack_b32_f16 v6, v117, v110
	global_store_dword v[0:1], v6, off
	v_lshlrev_b64 v[0:1], 2, v[2:3]
	v_mov_b32_e32 v2, v5
	v_mad_u64_u32 v[2:3], s[0:1], s3, v22, v[2:3]
	v_add_co_u32_e32 v0, vcc, v20, v0
	v_addc_co_u32_e32 v1, vcc, v21, v1, vcc
	v_pack_b32_f16 v3, v103, v96
	v_mov_b32_e32 v5, v2
	global_store_dword v[0:1], v3, off
	v_lshlrev_b64 v[0:1], 2, v[4:5]
	v_add_u32_e32 v4, 0xfa, v14
	v_mad_u64_u32 v[2:3], s[0:1], s2, v4, 0
	v_add_u32_e32 v22, 0x12c, v14
	v_add_co_u32_e32 v0, vcc, v20, v0
	v_mad_u64_u32 v[3:4], s[0:1], s3, v4, v[3:4]
	v_mad_u64_u32 v[4:5], s[0:1], s2, v22, 0
	v_addc_co_u32_e32 v1, vcc, v21, v1, vcc
	v_pack_b32_f16 v6, v89, v82
	global_store_dword v[0:1], v6, off
	v_lshlrev_b64 v[0:1], 2, v[2:3]
	v_mov_b32_e32 v2, v5
	v_mad_u64_u32 v[2:3], s[0:1], s3, v22, v[2:3]
	;; [unrolled: 18-line block ×5, first 2 shown]
	v_add_co_u32_e32 v0, vcc, v20, v0
	v_addc_co_u32_e32 v1, vcc, v21, v1, vcc
	v_pack_b32_f16 v3, v19, v18
	v_mov_b32_e32 v5, v2
	global_store_dword v[0:1], v3, off
	v_lshlrev_b64 v[0:1], 2, v[4:5]
	v_pack_b32_f16 v2, v15, v16
	v_add_co_u32_e32 v0, vcc, v20, v0
	v_addc_co_u32_e32 v1, vcc, v21, v1, vcc
	global_store_dword v[0:1], v2, off
	s_endpgm
	.section	.rodata,"a",@progbits
	.p2align	6, 0x0
	.amdhsa_kernel fft_rtc_fwd_len650_factors_10_5_13_wgs_195_tpt_65_half_ip_CI_sbrr_dirReg
		.amdhsa_group_segment_fixed_size 0
		.amdhsa_private_segment_fixed_size 0
		.amdhsa_kernarg_size 88
		.amdhsa_user_sgpr_count 6
		.amdhsa_user_sgpr_private_segment_buffer 1
		.amdhsa_user_sgpr_dispatch_ptr 0
		.amdhsa_user_sgpr_queue_ptr 0
		.amdhsa_user_sgpr_kernarg_segment_ptr 1
		.amdhsa_user_sgpr_dispatch_id 0
		.amdhsa_user_sgpr_flat_scratch_init 0
		.amdhsa_user_sgpr_private_segment_size 0
		.amdhsa_uses_dynamic_stack 0
		.amdhsa_system_sgpr_private_segment_wavefront_offset 0
		.amdhsa_system_sgpr_workgroup_id_x 1
		.amdhsa_system_sgpr_workgroup_id_y 0
		.amdhsa_system_sgpr_workgroup_id_z 0
		.amdhsa_system_sgpr_workgroup_info 0
		.amdhsa_system_vgpr_workitem_id 0
		.amdhsa_next_free_vgpr 126
		.amdhsa_next_free_sgpr 24
		.amdhsa_reserve_vcc 1
		.amdhsa_reserve_flat_scratch 0
		.amdhsa_float_round_mode_32 0
		.amdhsa_float_round_mode_16_64 0
		.amdhsa_float_denorm_mode_32 3
		.amdhsa_float_denorm_mode_16_64 3
		.amdhsa_dx10_clamp 1
		.amdhsa_ieee_mode 1
		.amdhsa_fp16_overflow 0
		.amdhsa_exception_fp_ieee_invalid_op 0
		.amdhsa_exception_fp_denorm_src 0
		.amdhsa_exception_fp_ieee_div_zero 0
		.amdhsa_exception_fp_ieee_overflow 0
		.amdhsa_exception_fp_ieee_underflow 0
		.amdhsa_exception_fp_ieee_inexact 0
		.amdhsa_exception_int_div_zero 0
	.end_amdhsa_kernel
	.text
.Lfunc_end0:
	.size	fft_rtc_fwd_len650_factors_10_5_13_wgs_195_tpt_65_half_ip_CI_sbrr_dirReg, .Lfunc_end0-fft_rtc_fwd_len650_factors_10_5_13_wgs_195_tpt_65_half_ip_CI_sbrr_dirReg
                                        ; -- End function
	.section	.AMDGPU.csdata,"",@progbits
; Kernel info:
; codeLenInByte = 8268
; NumSgprs: 28
; NumVgprs: 126
; ScratchSize: 0
; MemoryBound: 0
; FloatMode: 240
; IeeeMode: 1
; LDSByteSize: 0 bytes/workgroup (compile time only)
; SGPRBlocks: 3
; VGPRBlocks: 31
; NumSGPRsForWavesPerEU: 28
; NumVGPRsForWavesPerEU: 126
; Occupancy: 2
; WaveLimiterHint : 1
; COMPUTE_PGM_RSRC2:SCRATCH_EN: 0
; COMPUTE_PGM_RSRC2:USER_SGPR: 6
; COMPUTE_PGM_RSRC2:TRAP_HANDLER: 0
; COMPUTE_PGM_RSRC2:TGID_X_EN: 1
; COMPUTE_PGM_RSRC2:TGID_Y_EN: 0
; COMPUTE_PGM_RSRC2:TGID_Z_EN: 0
; COMPUTE_PGM_RSRC2:TIDIG_COMP_CNT: 0
	.type	__hip_cuid_8348854481f1f728,@object ; @__hip_cuid_8348854481f1f728
	.section	.bss,"aw",@nobits
	.globl	__hip_cuid_8348854481f1f728
__hip_cuid_8348854481f1f728:
	.byte	0                               ; 0x0
	.size	__hip_cuid_8348854481f1f728, 1

	.ident	"AMD clang version 19.0.0git (https://github.com/RadeonOpenCompute/llvm-project roc-6.4.0 25133 c7fe45cf4b819c5991fe208aaa96edf142730f1d)"
	.section	".note.GNU-stack","",@progbits
	.addrsig
	.addrsig_sym __hip_cuid_8348854481f1f728
	.amdgpu_metadata
---
amdhsa.kernels:
  - .args:
      - .actual_access:  read_only
        .address_space:  global
        .offset:         0
        .size:           8
        .value_kind:     global_buffer
      - .offset:         8
        .size:           8
        .value_kind:     by_value
      - .actual_access:  read_only
        .address_space:  global
        .offset:         16
        .size:           8
        .value_kind:     global_buffer
      - .actual_access:  read_only
        .address_space:  global
        .offset:         24
        .size:           8
        .value_kind:     global_buffer
      - .offset:         32
        .size:           8
        .value_kind:     by_value
      - .actual_access:  read_only
        .address_space:  global
        .offset:         40
        .size:           8
        .value_kind:     global_buffer
      - .actual_access:  read_only
        .address_space:  global
        .offset:         48
        .size:           8
        .value_kind:     global_buffer
      - .offset:         56
        .size:           4
        .value_kind:     by_value
      - .actual_access:  read_only
        .address_space:  global
        .offset:         64
        .size:           8
        .value_kind:     global_buffer
      - .actual_access:  read_only
        .address_space:  global
        .offset:         72
        .size:           8
        .value_kind:     global_buffer
      - .address_space:  global
        .offset:         80
        .size:           8
        .value_kind:     global_buffer
    .group_segment_fixed_size: 0
    .kernarg_segment_align: 8
    .kernarg_segment_size: 88
    .language:       OpenCL C
    .language_version:
      - 2
      - 0
    .max_flat_workgroup_size: 195
    .name:           fft_rtc_fwd_len650_factors_10_5_13_wgs_195_tpt_65_half_ip_CI_sbrr_dirReg
    .private_segment_fixed_size: 0
    .sgpr_count:     28
    .sgpr_spill_count: 0
    .symbol:         fft_rtc_fwd_len650_factors_10_5_13_wgs_195_tpt_65_half_ip_CI_sbrr_dirReg.kd
    .uniform_work_group_size: 1
    .uses_dynamic_stack: false
    .vgpr_count:     126
    .vgpr_spill_count: 0
    .wavefront_size: 64
amdhsa.target:   amdgcn-amd-amdhsa--gfx906
amdhsa.version:
  - 1
  - 2
...

	.end_amdgpu_metadata
